;; amdgpu-corpus repo=ROCm/rocFFT kind=compiled arch=gfx906 opt=O3
	.text
	.amdgcn_target "amdgcn-amd-amdhsa--gfx906"
	.amdhsa_code_object_version 6
	.protected	fft_rtc_fwd_len864_factors_3_6_16_3_wgs_54_tpt_54_halfLds_dp_ip_CI_unitstride_sbrr_dirReg ; -- Begin function fft_rtc_fwd_len864_factors_3_6_16_3_wgs_54_tpt_54_halfLds_dp_ip_CI_unitstride_sbrr_dirReg
	.globl	fft_rtc_fwd_len864_factors_3_6_16_3_wgs_54_tpt_54_halfLds_dp_ip_CI_unitstride_sbrr_dirReg
	.p2align	8
	.type	fft_rtc_fwd_len864_factors_3_6_16_3_wgs_54_tpt_54_halfLds_dp_ip_CI_unitstride_sbrr_dirReg,@function
fft_rtc_fwd_len864_factors_3_6_16_3_wgs_54_tpt_54_halfLds_dp_ip_CI_unitstride_sbrr_dirReg: ; @fft_rtc_fwd_len864_factors_3_6_16_3_wgs_54_tpt_54_halfLds_dp_ip_CI_unitstride_sbrr_dirReg
; %bb.0:
	s_load_dwordx2 s[12:13], s[4:5], 0x50
	s_load_dwordx4 s[8:11], s[4:5], 0x0
	s_load_dwordx2 s[2:3], s[4:5], 0x18
	v_mul_u32_u24_e32 v1, 0x4be, v0
	v_add_u32_sdwa v5, s6, v1 dst_sel:DWORD dst_unused:UNUSED_PAD src0_sel:DWORD src1_sel:WORD_1
	v_mov_b32_e32 v3, 0
	s_waitcnt lgkmcnt(0)
	v_cmp_lt_u64_e64 s[0:1], s[10:11], 2
	v_mov_b32_e32 v1, 0
	v_mov_b32_e32 v6, v3
	s_and_b64 vcc, exec, s[0:1]
	v_mov_b32_e32 v2, 0
	s_cbranch_vccnz .LBB0_8
; %bb.1:
	s_load_dwordx2 s[0:1], s[4:5], 0x10
	s_add_u32 s6, s2, 8
	s_addc_u32 s7, s3, 0
	v_mov_b32_e32 v1, 0
	v_mov_b32_e32 v2, 0
	s_waitcnt lgkmcnt(0)
	s_add_u32 s14, s0, 8
	s_addc_u32 s15, s1, 0
	s_mov_b64 s[16:17], 1
.LBB0_2:                                ; =>This Inner Loop Header: Depth=1
	s_load_dwordx2 s[18:19], s[14:15], 0x0
                                        ; implicit-def: $vgpr7_vgpr8
	s_waitcnt lgkmcnt(0)
	v_or_b32_e32 v4, s19, v6
	v_cmp_ne_u64_e32 vcc, 0, v[3:4]
	s_and_saveexec_b64 s[0:1], vcc
	s_xor_b64 s[20:21], exec, s[0:1]
	s_cbranch_execz .LBB0_4
; %bb.3:                                ;   in Loop: Header=BB0_2 Depth=1
	v_cvt_f32_u32_e32 v4, s18
	v_cvt_f32_u32_e32 v7, s19
	s_sub_u32 s0, 0, s18
	s_subb_u32 s1, 0, s19
	v_mac_f32_e32 v4, 0x4f800000, v7
	v_rcp_f32_e32 v4, v4
	v_mul_f32_e32 v4, 0x5f7ffffc, v4
	v_mul_f32_e32 v7, 0x2f800000, v4
	v_trunc_f32_e32 v7, v7
	v_mac_f32_e32 v4, 0xcf800000, v7
	v_cvt_u32_f32_e32 v7, v7
	v_cvt_u32_f32_e32 v4, v4
	v_mul_lo_u32 v8, s0, v7
	v_mul_hi_u32 v9, s0, v4
	v_mul_lo_u32 v11, s1, v4
	v_mul_lo_u32 v10, s0, v4
	v_add_u32_e32 v8, v9, v8
	v_add_u32_e32 v8, v8, v11
	v_mul_hi_u32 v9, v4, v10
	v_mul_lo_u32 v11, v4, v8
	v_mul_hi_u32 v13, v4, v8
	v_mul_hi_u32 v12, v7, v10
	v_mul_lo_u32 v10, v7, v10
	v_mul_hi_u32 v14, v7, v8
	v_add_co_u32_e32 v9, vcc, v9, v11
	v_addc_co_u32_e32 v11, vcc, 0, v13, vcc
	v_mul_lo_u32 v8, v7, v8
	v_add_co_u32_e32 v9, vcc, v9, v10
	v_addc_co_u32_e32 v9, vcc, v11, v12, vcc
	v_addc_co_u32_e32 v10, vcc, 0, v14, vcc
	v_add_co_u32_e32 v8, vcc, v9, v8
	v_addc_co_u32_e32 v9, vcc, 0, v10, vcc
	v_add_co_u32_e32 v4, vcc, v4, v8
	v_addc_co_u32_e32 v7, vcc, v7, v9, vcc
	v_mul_lo_u32 v8, s0, v7
	v_mul_hi_u32 v9, s0, v4
	v_mul_lo_u32 v10, s1, v4
	v_mul_lo_u32 v11, s0, v4
	v_add_u32_e32 v8, v9, v8
	v_add_u32_e32 v8, v8, v10
	v_mul_lo_u32 v12, v4, v8
	v_mul_hi_u32 v13, v4, v11
	v_mul_hi_u32 v14, v4, v8
	;; [unrolled: 1-line block ×3, first 2 shown]
	v_mul_lo_u32 v11, v7, v11
	v_mul_hi_u32 v9, v7, v8
	v_add_co_u32_e32 v12, vcc, v13, v12
	v_addc_co_u32_e32 v13, vcc, 0, v14, vcc
	v_mul_lo_u32 v8, v7, v8
	v_add_co_u32_e32 v11, vcc, v12, v11
	v_addc_co_u32_e32 v10, vcc, v13, v10, vcc
	v_addc_co_u32_e32 v9, vcc, 0, v9, vcc
	v_add_co_u32_e32 v8, vcc, v10, v8
	v_addc_co_u32_e32 v9, vcc, 0, v9, vcc
	v_add_co_u32_e32 v4, vcc, v4, v8
	v_addc_co_u32_e32 v9, vcc, v7, v9, vcc
	v_mad_u64_u32 v[7:8], s[0:1], v5, v9, 0
	v_mul_hi_u32 v10, v5, v4
	v_add_co_u32_e32 v11, vcc, v10, v7
	v_addc_co_u32_e32 v12, vcc, 0, v8, vcc
	v_mad_u64_u32 v[7:8], s[0:1], v6, v4, 0
	v_mad_u64_u32 v[9:10], s[0:1], v6, v9, 0
	v_add_co_u32_e32 v4, vcc, v11, v7
	v_addc_co_u32_e32 v4, vcc, v12, v8, vcc
	v_addc_co_u32_e32 v7, vcc, 0, v10, vcc
	v_add_co_u32_e32 v4, vcc, v4, v9
	v_addc_co_u32_e32 v9, vcc, 0, v7, vcc
	v_mul_lo_u32 v10, s19, v4
	v_mul_lo_u32 v11, s18, v9
	v_mad_u64_u32 v[7:8], s[0:1], s18, v4, 0
	v_add3_u32 v8, v8, v11, v10
	v_sub_u32_e32 v10, v6, v8
	v_mov_b32_e32 v11, s19
	v_sub_co_u32_e32 v7, vcc, v5, v7
	v_subb_co_u32_e64 v10, s[0:1], v10, v11, vcc
	v_subrev_co_u32_e64 v11, s[0:1], s18, v7
	v_subbrev_co_u32_e64 v10, s[0:1], 0, v10, s[0:1]
	v_cmp_le_u32_e64 s[0:1], s19, v10
	v_cndmask_b32_e64 v12, 0, -1, s[0:1]
	v_cmp_le_u32_e64 s[0:1], s18, v11
	v_cndmask_b32_e64 v11, 0, -1, s[0:1]
	v_cmp_eq_u32_e64 s[0:1], s19, v10
	v_cndmask_b32_e64 v10, v12, v11, s[0:1]
	v_add_co_u32_e64 v11, s[0:1], 2, v4
	v_addc_co_u32_e64 v12, s[0:1], 0, v9, s[0:1]
	v_add_co_u32_e64 v13, s[0:1], 1, v4
	v_addc_co_u32_e64 v14, s[0:1], 0, v9, s[0:1]
	v_subb_co_u32_e32 v8, vcc, v6, v8, vcc
	v_cmp_ne_u32_e64 s[0:1], 0, v10
	v_cmp_le_u32_e32 vcc, s19, v8
	v_cndmask_b32_e64 v10, v14, v12, s[0:1]
	v_cndmask_b32_e64 v12, 0, -1, vcc
	v_cmp_le_u32_e32 vcc, s18, v7
	v_cndmask_b32_e64 v7, 0, -1, vcc
	v_cmp_eq_u32_e32 vcc, s19, v8
	v_cndmask_b32_e32 v7, v12, v7, vcc
	v_cmp_ne_u32_e32 vcc, 0, v7
	v_cndmask_b32_e64 v7, v13, v11, s[0:1]
	v_cndmask_b32_e32 v8, v9, v10, vcc
	v_cndmask_b32_e32 v7, v4, v7, vcc
.LBB0_4:                                ;   in Loop: Header=BB0_2 Depth=1
	s_andn2_saveexec_b64 s[0:1], s[20:21]
	s_cbranch_execz .LBB0_6
; %bb.5:                                ;   in Loop: Header=BB0_2 Depth=1
	v_cvt_f32_u32_e32 v4, s18
	s_sub_i32 s20, 0, s18
	v_rcp_iflag_f32_e32 v4, v4
	v_mul_f32_e32 v4, 0x4f7ffffe, v4
	v_cvt_u32_f32_e32 v4, v4
	v_mul_lo_u32 v7, s20, v4
	v_mul_hi_u32 v7, v4, v7
	v_add_u32_e32 v4, v4, v7
	v_mul_hi_u32 v4, v5, v4
	v_mul_lo_u32 v7, v4, s18
	v_add_u32_e32 v8, 1, v4
	v_sub_u32_e32 v7, v5, v7
	v_subrev_u32_e32 v9, s18, v7
	v_cmp_le_u32_e32 vcc, s18, v7
	v_cndmask_b32_e32 v7, v7, v9, vcc
	v_cndmask_b32_e32 v4, v4, v8, vcc
	v_add_u32_e32 v8, 1, v4
	v_cmp_le_u32_e32 vcc, s18, v7
	v_cndmask_b32_e32 v7, v4, v8, vcc
	v_mov_b32_e32 v8, v3
.LBB0_6:                                ;   in Loop: Header=BB0_2 Depth=1
	s_or_b64 exec, exec, s[0:1]
	v_mul_lo_u32 v4, v8, s18
	v_mul_lo_u32 v11, v7, s19
	v_mad_u64_u32 v[9:10], s[0:1], v7, s18, 0
	s_load_dwordx2 s[0:1], s[6:7], 0x0
	s_add_u32 s16, s16, 1
	v_add3_u32 v4, v10, v11, v4
	v_sub_co_u32_e32 v5, vcc, v5, v9
	v_subb_co_u32_e32 v4, vcc, v6, v4, vcc
	s_waitcnt lgkmcnt(0)
	v_mul_lo_u32 v4, s0, v4
	v_mul_lo_u32 v6, s1, v5
	v_mad_u64_u32 v[1:2], s[0:1], s0, v5, v[1:2]
	s_addc_u32 s17, s17, 0
	s_add_u32 s6, s6, 8
	v_add3_u32 v2, v6, v2, v4
	v_mov_b32_e32 v4, s10
	v_mov_b32_e32 v5, s11
	s_addc_u32 s7, s7, 0
	v_cmp_ge_u64_e32 vcc, s[16:17], v[4:5]
	s_add_u32 s14, s14, 8
	s_addc_u32 s15, s15, 0
	s_cbranch_vccnz .LBB0_9
; %bb.7:                                ;   in Loop: Header=BB0_2 Depth=1
	v_mov_b32_e32 v5, v7
	v_mov_b32_e32 v6, v8
	s_branch .LBB0_2
.LBB0_8:
	v_mov_b32_e32 v8, v6
	v_mov_b32_e32 v7, v5
.LBB0_9:
	s_lshl_b64 s[0:1], s[10:11], 3
	s_add_u32 s0, s2, s0
	s_addc_u32 s1, s3, s1
	s_load_dwordx2 s[2:3], s[0:1], 0x0
	s_load_dwordx2 s[6:7], s[4:5], 0x20
                                        ; implicit-def: $vgpr84_vgpr85
                                        ; implicit-def: $vgpr54_vgpr55
                                        ; implicit-def: $vgpr18_vgpr19
                                        ; implicit-def: $vgpr10_vgpr11
                                        ; implicit-def: $vgpr22_vgpr23
                                        ; implicit-def: $vgpr46_vgpr47
                                        ; implicit-def: $vgpr30_vgpr31
                                        ; implicit-def: $vgpr26_vgpr27
                                        ; implicit-def: $vgpr42_vgpr43
                                        ; implicit-def: $vgpr38_vgpr39
                                        ; implicit-def: $vgpr34_vgpr35
                                        ; implicit-def: $vgpr72_vgpr73
                                        ; implicit-def: $vgpr68_vgpr69
                                        ; implicit-def: $vgpr64_vgpr65
                                        ; implicit-def: $vgpr50_vgpr51
                                        ; implicit-def: $vgpr76_vgpr77
                                        ; implicit-def: $vgpr80_vgpr81
	s_waitcnt lgkmcnt(0)
	v_mad_u64_u32 v[1:2], s[0:1], s2, v7, v[1:2]
	v_mul_lo_u32 v3, s2, v8
	v_mul_lo_u32 v4, s3, v7
	s_mov_b32 s0, 0x4bda130
	v_mul_hi_u32 v5, v0, s0
	v_cmp_gt_u64_e64 s[0:1], s[6:7], v[7:8]
	v_add3_u32 v2, v4, v2, v3
	v_lshlrev_b64 v[108:109], 4, v[1:2]
	v_mul_u32_u24_e32 v3, 54, v5
	v_sub_u32_e32 v106, v0, v3
                                        ; implicit-def: $vgpr6_vgpr7
	s_and_saveexec_b64 s[2:3], s[0:1]
	s_cbranch_execz .LBB0_13
; %bb.10:
	v_mov_b32_e32 v107, 0
	v_mov_b32_e32 v0, s13
	v_add_co_u32_e32 v6, vcc, s12, v108
	v_addc_co_u32_e32 v7, vcc, v0, v109, vcc
	v_lshlrev_b64 v[0:1], 4, v[106:107]
	v_or_b32_e32 v4, 0x240, v106
	v_add_co_u32_e32 v0, vcc, v6, v0
	v_addc_co_u32_e32 v1, vcc, v7, v1, vcc
	v_mov_b32_e32 v5, v107
	v_add_co_u32_e32 v2, vcc, 0x1000, v0
	v_lshlrev_b64 v[4:5], 4, v[4:5]
	v_addc_co_u32_e32 v3, vcc, 0, v1, vcc
	v_add_co_u32_e32 v12, vcc, v6, v4
	v_addc_co_u32_e32 v13, vcc, v7, v5, vcc
	s_movk_i32 s4, 0x2000
	v_add_co_u32_e32 v14, vcc, s4, v0
	v_addc_co_u32_e32 v15, vcc, 0, v1, vcc
	global_load_dwordx4 v[4:7], v[12:13], off
	global_load_dwordx4 v[8:11], v[14:15], off offset:1888
	global_load_dwordx4 v[16:19], v[2:3], off offset:1376
	;; [unrolled: 1-line block ×3, first 2 shown]
	v_add_co_u32_e32 v12, vcc, 0x3000, v0
	v_addc_co_u32_e32 v13, vcc, 0, v1, vcc
	global_load_dwordx4 v[44:47], v[14:15], off offset:2752
	global_load_dwordx4 v[24:27], v[14:15], off offset:3616
	;; [unrolled: 1-line block ×5, first 2 shown]
	global_load_dwordx4 v[78:81], v[0:1], off
	global_load_dwordx4 v[52:55], v[0:1], off offset:864
	global_load_dwordx4 v[74:77], v[0:1], off offset:1728
	;; [unrolled: 1-line block ×5, first 2 shown]
	v_cmp_gt_u32_e32 vcc, 18, v106
                                        ; implicit-def: $vgpr62_vgpr63
                                        ; implicit-def: $vgpr66_vgpr67
                                        ; implicit-def: $vgpr70_vgpr71
	s_and_saveexec_b64 s[4:5], vcc
	s_cbranch_execz .LBB0_12
; %bb.11:
	v_add_co_u32_e32 v2, vcc, 0x1000, v0
	v_addc_co_u32_e32 v3, vcc, 0, v1, vcc
	v_add_co_u32_e32 v12, vcc, 0x2000, v0
	v_addc_co_u32_e32 v13, vcc, 0, v1, vcc
	;; [unrolled: 2-line block ×3, first 2 shown]
	global_load_dwordx4 v[62:65], v[2:3], off offset:224
	global_load_dwordx4 v[66:69], v[12:13], off offset:736
	;; [unrolled: 1-line block ×3, first 2 shown]
.LBB0_12:
	s_or_b64 exec, exec, s[4:5]
.LBB0_13:
	s_or_b64 exec, exec, s[2:3]
	s_waitcnt vmcnt(10)
	v_add_f64 v[0:1], v[20:21], v[44:45]
	s_waitcnt vmcnt(8)
	v_add_f64 v[2:3], v[28:29], v[24:25]
	;; [unrolled: 2-line block ×3, first 2 shown]
	v_add_f64 v[14:15], v[22:23], -v[46:47]
	v_add_f64 v[58:59], v[30:31], -v[26:27]
	s_mov_b32 s2, 0xe8584caa
	s_mov_b32 s3, 0x3febb67a
	;; [unrolled: 1-line block ×3, first 2 shown]
	v_fma_f64 v[0:1], v[0:1], -0.5, v[74:75]
	s_waitcnt vmcnt(2)
	v_fma_f64 v[2:3], v[2:3], -0.5, v[48:49]
	v_add_f64 v[12:13], v[44:45], v[12:13]
	s_mov_b32 s4, s2
	v_add_f64 v[56:57], v[28:29], v[48:49]
	v_mad_u32_u24 v110, v106, 24, 0
	v_add_u32_e32 v88, 0xa20, v110
	s_waitcnt vmcnt(1)
	v_add_f64 v[60:61], v[82:83], v[4:5]
	v_fma_f64 v[74:75], v[14:15], s[2:3], v[0:1]
	v_fma_f64 v[86:87], v[58:59], s[2:3], v[2:3]
	;; [unrolled: 1-line block ×4, first 2 shown]
	v_add_f64 v[48:49], v[82:83], v[78:79]
	v_add_f64 v[56:57], v[24:25], v[56:57]
	;; [unrolled: 1-line block ×4, first 2 shown]
	ds_write2_b64 v88, v[12:13], v[74:75] offset1:1
	v_add_u32_e32 v74, 0x800, v110
	v_add_u32_e32 v89, 0xf30, v110
	ds_write2_b64 v74, v[0:1], v[2:3] offset0:70 offset1:232
	s_waitcnt vmcnt(0)
	v_add_f64 v[0:1], v[70:71], v[66:67]
	v_fma_f64 v[60:61], v[60:61], -0.5, v[78:79]
	v_add_f64 v[12:13], v[84:85], -v[6:7]
	ds_write2_b64 v89, v[56:57], v[86:87] offset1:1
	v_add_f64 v[56:57], v[52:53], v[16:17]
	v_add_f64 v[74:75], v[4:5], v[48:49]
	v_fma_f64 v[2:3], v[14:15], -0.5, v[52:53]
	v_add_f64 v[14:15], v[18:19], -v[10:11]
	v_fma_f64 v[48:49], v[58:59], -0.5, v[40:41]
	v_add_f64 v[40:41], v[40:41], v[36:37]
	v_add_f64 v[52:53], v[38:39], -v[34:35]
	v_add_f64 v[58:59], v[66:67], v[62:63]
	v_fma_f64 v[62:63], v[0:1], -0.5, v[62:63]
	v_add_f64 v[86:87], v[68:69], -v[72:73]
	v_fma_f64 v[78:79], v[12:13], s[2:3], v[60:61]
	v_add_f64 v[56:57], v[56:57], v[8:9]
	v_fma_f64 v[88:89], v[14:15], s[2:3], v[2:3]
	v_fma_f64 v[12:13], v[12:13], s[4:5], v[60:61]
	;; [unrolled: 1-line block ×3, first 2 shown]
	v_add_f64 v[0:1], v[40:41], v[32:33]
	v_fma_f64 v[2:3], v[52:53], s[2:3], v[48:49]
	v_fma_f64 v[60:61], v[52:53], s[4:5], v[48:49]
	v_add_f64 v[52:53], v[70:71], v[58:59]
	v_fma_f64 v[48:49], v[86:87], s[2:3], v[62:63]
	v_fma_f64 v[58:59], v[86:87], s[4:5], v[62:63]
	ds_write2_b64 v110, v[74:75], v[78:79] offset1:1
	ds_write2_b64 v110, v[56:57], v[88:89] offset0:162 offset1:163
	ds_write2_b64 v110, v[12:13], v[14:15] offset0:2 offset1:164
	v_add_u32_e32 v12, 0x1440, v110
	v_cmp_gt_u32_e64 s[2:3], 18, v106
	ds_write2_b64 v12, v[0:1], v[2:3] offset1:1
	ds_write_b64 v110, v[60:61] offset:5200
	s_and_saveexec_b64 s[4:5], s[2:3]
	s_cbranch_execz .LBB0_15
; %bb.14:
	v_add_u32_e32 v12, 0x1950, v110
	ds_write2_b64 v12, v[52:53], v[48:49] offset1:1
	ds_write_b64 v110, v[58:59] offset:6496
.LBB0_15:
	s_or_b64 exec, exec, s[4:5]
	v_lshlrev_b32_e32 v12, 4, v106
	v_sub_u32_e32 v107, v110, v12
	v_add_u32_e32 v40, 0x800, v107
	s_waitcnt lgkmcnt(0)
	; wave barrier
	s_waitcnt lgkmcnt(0)
	ds_read2_b64 v[12:15], v107 offset1:54
	ds_read2_b64 v[102:105], v107 offset0:144 offset1:198
	ds_read2_b64 v[98:101], v40 offset0:32 offset1:86
	ds_read2_b64 v[94:97], v40 offset0:176 offset1:230
	v_add_u32_e32 v40, 0x1000, v107
	ds_read2_b64 v[90:93], v40 offset0:64 offset1:118
	v_add_u32_e32 v40, 0x1400, v107
	ds_read2_b64 v[86:89], v40 offset0:80 offset1:134
	v_cmp_gt_u32_e32 vcc, 36, v106
	s_and_saveexec_b64 s[4:5], vcc
	s_cbranch_execz .LBB0_17
; %bb.16:
	v_add_u32_e32 v0, 0xc00, v107
	ds_read2_b64 v[56:59], v40 offset0:44 offset1:188
	ds_read2_b64 v[60:63], v0 offset0:12 offset1:156
	;; [unrolled: 1-line block ×3, first 2 shown]
	s_waitcnt lgkmcnt(2)
	v_mov_b32_e32 v48, v56
	s_waitcnt lgkmcnt(1)
	v_mov_b32_e32 v52, v62
	v_mov_b32_e32 v49, v57
	;; [unrolled: 1-line block ×3, first 2 shown]
.LBB0_17:
	s_or_b64 exec, exec, s[4:5]
	v_add_f64 v[40:41], v[84:85], v[6:7]
	v_add_f64 v[56:57], v[84:85], v[80:81]
	;; [unrolled: 1-line block ×4, first 2 shown]
	v_add_f64 v[4:5], v[82:83], -v[4:5]
	v_add_f64 v[18:19], v[54:55], v[18:19]
	v_add_f64 v[8:9], v[16:17], -v[8:9]
	v_add_f64 v[16:17], v[22:23], v[76:77]
	v_fma_f64 v[40:41], v[40:41], -0.5, v[80:81]
	v_add_f64 v[20:21], v[20:21], -v[44:45]
	v_fma_f64 v[22:23], v[62:63], -0.5, v[54:55]
	v_add_f64 v[54:55], v[6:7], v[56:57]
	v_fma_f64 v[6:7], v[74:75], -0.5, v[76:77]
	s_mov_b32 s4, 0xe8584caa
	s_mov_b32 s5, 0xbfebb67a
	;; [unrolled: 1-line block ×4, first 2 shown]
	v_fma_f64 v[56:57], v[4:5], s[4:5], v[40:41]
	v_fma_f64 v[40:41], v[4:5], s[6:7], v[40:41]
	v_add_f64 v[4:5], v[30:31], v[26:27]
	v_add_f64 v[46:47], v[46:47], v[16:17]
	v_add_f64 v[16:17], v[38:39], v[34:35]
	v_fma_f64 v[62:63], v[20:21], s[4:5], v[6:7]
	v_fma_f64 v[74:75], v[20:21], s[6:7], v[6:7]
	v_add_f64 v[6:7], v[72:73], v[68:69]
	v_add_f64 v[10:11], v[18:19], v[10:11]
	;; [unrolled: 1-line block ×3, first 2 shown]
	v_fma_f64 v[4:5], v[4:5], -0.5, v[50:51]
	v_add_f64 v[20:21], v[28:29], -v[24:25]
	v_fma_f64 v[44:45], v[8:9], s[4:5], v[22:23]
	v_fma_f64 v[8:9], v[8:9], s[6:7], v[22:23]
	v_add_f64 v[22:23], v[42:43], v[38:39]
	v_fma_f64 v[16:17], v[16:17], -0.5, v[42:43]
	v_add_f64 v[24:25], v[36:37], -v[32:33]
	v_add_f64 v[28:29], v[68:69], v[64:65]
	v_fma_f64 v[30:31], v[6:7], -0.5, v[64:65]
	v_add_f64 v[32:33], v[66:67], -v[70:71]
	v_add_f64 v[26:27], v[26:27], v[18:19]
	v_fma_f64 v[36:37], v[20:21], s[4:5], v[4:5]
	v_fma_f64 v[38:39], v[20:21], s[6:7], v[4:5]
	v_add_f64 v[4:5], v[22:23], v[34:35]
	v_fma_f64 v[6:7], v[24:25], s[4:5], v[16:17]
	v_fma_f64 v[20:21], v[24:25], s[6:7], v[16:17]
	;; [unrolled: 3-line block ×3, first 2 shown]
	s_waitcnt lgkmcnt(0)
	; wave barrier
	s_waitcnt lgkmcnt(0)
	ds_write2_b64 v110, v[54:55], v[56:57] offset1:1
	ds_write2_b64 v110, v[10:11], v[44:45] offset0:162 offset1:163
	ds_write2_b64 v110, v[40:41], v[8:9] offset0:2 offset1:164
	v_add_u32_e32 v8, 0xa20, v110
	ds_write2_b64 v8, v[46:47], v[62:63] offset1:1
	v_add_u32_e32 v8, 0xf30, v110
	ds_write2_b64 v8, v[26:27], v[36:37] offset1:1
	v_add_u32_e32 v8, 0x800, v110
	ds_write2_b64 v8, v[74:75], v[38:39] offset0:70 offset1:232
	v_add_u32_e32 v8, 0x1440, v110
	ds_write2_b64 v8, v[4:5], v[6:7] offset1:1
	ds_write_b64 v110, v[20:21] offset:5200
	s_and_saveexec_b64 s[4:5], s[2:3]
	s_cbranch_execz .LBB0_19
; %bb.18:
	v_add_u32_e32 v8, 0x1950, v110
	ds_write2_b64 v8, v[22:23], v[16:17] offset1:1
	ds_write_b64 v110, v[18:19] offset:6496
.LBB0_19:
	s_or_b64 exec, exec, s[4:5]
	v_add_u32_e32 v24, 0x800, v107
	s_waitcnt lgkmcnt(0)
	; wave barrier
	s_waitcnt lgkmcnt(0)
	ds_read2_b64 v[8:11], v107 offset1:54
	ds_read2_b64 v[40:43], v107 offset0:144 offset1:198
	ds_read2_b64 v[36:39], v24 offset0:32 offset1:86
	;; [unrolled: 1-line block ×3, first 2 shown]
	v_add_u32_e32 v24, 0x1000, v107
	v_add_u32_e32 v44, 0x1400, v107
	ds_read2_b64 v[28:31], v24 offset0:64 offset1:118
	ds_read2_b64 v[24:27], v44 offset0:80 offset1:134
	s_and_saveexec_b64 s[4:5], vcc
	s_cbranch_execz .LBB0_21
; %bb.20:
	v_add_u32_e32 v4, 0xc00, v107
	ds_read2_b64 v[16:19], v44 offset0:44 offset1:188
	ds_read2_b64 v[20:23], v4 offset0:12 offset1:156
	ds_read2_b64 v[4:7], v107 offset0:108 offset1:252
.LBB0_21:
	s_or_b64 exec, exec, s[4:5]
	s_movk_i32 s4, 0xab
	v_mul_lo_u16_sdwa v44, v106, s4 dst_sel:DWORD dst_unused:UNUSED_PAD src0_sel:BYTE_0 src1_sel:DWORD
	v_lshrrev_b16_e32 v133, 9, v44
	v_mul_lo_u16_e32 v44, 3, v133
	v_sub_u16_e32 v134, v106, v44
	v_mov_b32_e32 v117, 5
	v_add_u32_e32 v110, 54, v106
	v_mul_u32_u24_sdwa v44, v134, v117 dst_sel:DWORD dst_unused:UNUSED_PAD src0_sel:BYTE_0 src1_sel:DWORD
	v_lshlrev_b32_e32 v82, 4, v44
	v_mul_lo_u16_sdwa v44, v110, s4 dst_sel:DWORD dst_unused:UNUSED_PAD src0_sel:BYTE_0 src1_sel:DWORD
	v_lshrrev_b16_e32 v135, 9, v44
	global_load_dwordx4 v[44:47], v82, s[8:9]
	v_mul_lo_u16_e32 v50, 3, v135
	v_sub_u16_e32 v136, v110, v50
	v_mul_u32_u24_sdwa v50, v136, v117 dst_sel:DWORD dst_unused:UNUSED_PAD src0_sel:BYTE_0 src1_sel:DWORD
	v_lshlrev_b32_e32 v118, 4, v50
	global_load_dwordx4 v[54:57], v118, s[8:9]
	global_load_dwordx4 v[62:65], v82, s[8:9] offset:16
	global_load_dwordx4 v[66:69], v118, s[8:9] offset:16
	;; [unrolled: 1-line block ×5, first 2 shown]
	s_mov_b32 s7, 0xbfebb67a
	global_load_dwordx4 v[82:85], v82, s[8:9] offset:64
	s_waitcnt vmcnt(7) lgkmcnt(4)
	v_mul_f64 v[50:51], v[40:41], v[46:47]
	v_mul_f64 v[46:47], v[102:103], v[46:47]
	s_waitcnt vmcnt(6)
	v_mul_f64 v[111:112], v[42:43], v[56:57]
	v_fma_f64 v[115:116], v[102:103], v[44:45], -v[50:51]
	v_fma_f64 v[44:45], v[40:41], v[44:45], v[46:47]
	v_mul_f64 v[40:41], v[104:105], v[56:57]
	v_fma_f64 v[56:57], v[104:105], v[54:55], -v[111:112]
	global_load_dwordx4 v[111:114], v118, s[8:9] offset:48
	v_add_u32_e32 v102, 0x6c, v106
	v_mul_lo_u16_sdwa v50, v102, s4 dst_sel:DWORD dst_unused:UNUSED_PAD src0_sel:BYTE_0 src1_sel:DWORD
	v_lshrrev_b16_e32 v103, 9, v50
	v_mul_lo_u16_e32 v50, 3, v103
	s_waitcnt vmcnt(6)
	v_mul_f64 v[46:47], v[98:99], v[64:65]
	v_fma_f64 v[40:41], v[42:43], v[54:55], v[40:41]
	s_waitcnt lgkmcnt(3)
	v_mul_f64 v[42:43], v[36:37], v[64:65]
	v_sub_u16_e32 v104, v102, v50
	s_waitcnt vmcnt(5)
	v_mul_f64 v[50:51], v[38:39], v[68:69]
	v_mul_f64 v[54:55], v[100:101], v[68:69]
	v_mul_u32_u24_sdwa v64, v104, v117 dst_sel:DWORD dst_unused:UNUSED_PAD src0_sel:BYTE_0 src1_sel:DWORD
	s_waitcnt vmcnt(4)
	v_mul_f64 v[68:69], v[94:95], v[72:73]
	v_fma_f64 v[46:47], v[36:37], v[62:63], v[46:47]
	v_lshlrev_b32_e32 v105, 4, v64
	v_fma_f64 v[42:43], v[98:99], v[62:63], -v[42:43]
	s_waitcnt lgkmcnt(2)
	v_mul_f64 v[62:63], v[32:33], v[72:73]
	v_fma_f64 v[36:37], v[100:101], v[66:67], -v[50:51]
	s_waitcnt vmcnt(3)
	v_mul_f64 v[50:51], v[34:35], v[76:77]
	v_fma_f64 v[38:39], v[38:39], v[66:67], v[54:55]
	global_load_dwordx4 v[64:67], v118, s[8:9] offset:64
	v_mul_f64 v[72:73], v[96:97], v[76:77]
	v_fma_f64 v[54:55], v[32:33], v[70:71], v[68:69]
	s_waitcnt vmcnt(3)
	v_mul_f64 v[76:77], v[90:91], v[80:81]
	v_fma_f64 v[117:118], v[94:95], v[70:71], -v[62:63]
	global_load_dwordx4 v[68:71], v105, s[8:9]
	s_waitcnt lgkmcnt(1)
	v_mul_f64 v[62:63], v[28:29], v[80:81]
	v_fma_f64 v[80:81], v[96:97], v[74:75], -v[50:51]
	global_load_dwordx4 v[94:97], v105, s[8:9] offset:16
	v_fma_f64 v[32:33], v[34:35], v[74:75], v[72:73]
	global_load_dwordx4 v[72:75], v105, s[8:9] offset:32
	global_load_dwordx4 v[98:101], v105, s[8:9] offset:48
	v_fma_f64 v[28:29], v[28:29], v[78:79], v[76:77]
	s_mov_b32 s4, 0xe8584caa
	s_mov_b32 s5, 0x3febb67a
	v_fma_f64 v[34:35], v[90:91], v[78:79], -v[62:63]
	global_load_dwordx4 v[76:79], v105, s[8:9] offset:64
	s_waitcnt vmcnt(7) lgkmcnt(0)
	v_mul_f64 v[90:91], v[24:25], v[84:85]
	s_mov_b32 s6, s4
	s_waitcnt lgkmcnt(0)
	; wave barrier
	s_waitcnt vmcnt(6)
	v_mul_f64 v[50:51], v[30:31], v[113:114]
	v_fma_f64 v[62:63], v[92:93], v[111:112], -v[50:51]
	v_mul_f64 v[50:51], v[92:93], v[113:114]
	v_fma_f64 v[30:31], v[30:31], v[111:112], v[50:51]
	v_mul_f64 v[50:51], v[86:87], v[84:85]
	v_fma_f64 v[86:87], v[86:87], v[82:83], -v[90:91]
	s_waitcnt vmcnt(5)
	v_mul_f64 v[84:85], v[26:27], v[66:67]
	v_mul_f64 v[92:93], v[88:89], v[66:67]
	s_waitcnt vmcnt(4)
	v_mul_f64 v[111:112], v[6:7], v[70:71]
	v_fma_f64 v[66:67], v[24:25], v[82:83], v[50:51]
	v_mul_f64 v[50:51], v[2:3], v[70:71]
	s_waitcnt vmcnt(3)
	v_mul_f64 v[70:71], v[20:21], v[96:97]
	v_fma_f64 v[82:83], v[88:89], v[64:65], -v[84:85]
	s_waitcnt vmcnt(2)
	v_mul_f64 v[88:89], v[22:23], v[74:75]
	v_fma_f64 v[24:25], v[26:27], v[64:65], v[92:93]
	v_mul_f64 v[64:65], v[52:53], v[74:75]
	v_mul_f64 v[84:85], v[60:61], v[96:97]
	s_waitcnt vmcnt(1)
	v_mul_f64 v[74:75], v[16:17], v[100:101]
	v_mul_f64 v[90:91], v[48:49], v[100:101]
	s_waitcnt vmcnt(0)
	v_mul_f64 v[92:93], v[18:19], v[78:79]
	v_fma_f64 v[26:27], v[2:3], v[68:69], -v[111:112]
	v_fma_f64 v[6:7], v[6:7], v[68:69], v[50:51]
	v_mul_f64 v[68:69], v[58:59], v[78:79]
	v_fma_f64 v[2:3], v[60:61], v[94:95], -v[70:71]
	v_fma_f64 v[60:61], v[52:53], v[72:73], -v[88:89]
	v_fma_f64 v[52:53], v[22:23], v[72:73], v[64:65]
	v_add_f64 v[22:23], v[54:55], v[66:67]
	v_fma_f64 v[50:51], v[20:21], v[94:95], v[84:85]
	v_fma_f64 v[20:21], v[48:49], v[98:99], -v[74:75]
	v_fma_f64 v[48:49], v[16:17], v[98:99], v[90:91]
	v_fma_f64 v[16:17], v[58:59], v[76:77], -v[92:93]
	v_add_f64 v[58:59], v[117:118], v[86:87]
	v_fma_f64 v[64:65], v[18:19], v[76:77], v[68:69]
	v_add_f64 v[76:77], v[117:118], -v[86:87]
	v_fma_f64 v[78:79], v[22:23], -0.5, v[44:45]
	v_add_f64 v[70:71], v[42:43], v[34:35]
	v_add_f64 v[74:75], v[54:55], -v[66:67]
	v_add_f64 v[68:69], v[12:13], v[42:43]
	v_add_f64 v[72:73], v[46:47], -v[28:29]
	v_fma_f64 v[58:59], v[58:59], -0.5, v[115:116]
	v_add_f64 v[84:85], v[115:116], v[117:118]
	v_add_f64 v[96:97], v[80:81], v[82:83]
	v_fma_f64 v[22:23], v[76:77], s[6:7], v[78:79]
	v_fma_f64 v[12:13], v[70:71], -0.5, v[12:13]
	v_add_f64 v[90:91], v[36:37], v[62:63]
	v_add_f64 v[94:95], v[56:57], v[80:81]
	v_add_f64 v[98:99], v[32:33], -v[24:25]
	v_fma_f64 v[18:19], v[74:75], s[6:7], v[58:59]
	v_fma_f64 v[74:75], v[74:75], s[4:5], v[58:59]
	v_add_f64 v[100:101], v[32:33], v[24:25]
	v_mul_f64 v[58:59], v[22:23], s[4:5]
	v_fma_f64 v[70:71], v[76:77], s[4:5], v[78:79]
	v_add_f64 v[78:79], v[84:85], v[86:87]
	v_fma_f64 v[86:87], v[72:73], s[4:5], v[12:13]
	v_fma_f64 v[56:57], v[96:97], -0.5, v[56:57]
	v_mul_f64 v[76:77], v[18:19], -0.5
	v_add_f64 v[88:89], v[14:15], v[36:37]
	v_add_f64 v[80:81], v[80:81], -v[82:83]
	v_fma_f64 v[58:59], v[74:75], 0.5, v[58:59]
	v_add_f64 v[111:112], v[52:53], v[64:65]
	v_add_f64 v[68:69], v[68:69], v[34:35]
	v_fma_f64 v[84:85], v[100:101], -0.5, v[40:41]
	v_fma_f64 v[72:73], v[72:73], s[6:7], v[12:13]
	v_fma_f64 v[76:77], v[70:71], s[4:5], v[76:77]
	v_fma_f64 v[90:91], v[90:91], -0.5, v[14:15]
	v_fma_f64 v[14:15], v[98:99], s[6:7], v[56:57]
	v_add_f64 v[113:114], v[86:87], v[58:59]
	v_add_f64 v[117:118], v[86:87], -v[58:59]
	v_add_f64 v[58:59], v[60:61], v[16:17]
	v_add_f64 v[92:93], v[38:39], -v[30:31]
	;; [unrolled: 2-line block ×3, first 2 shown]
	v_fma_f64 v[12:13], v[80:81], s[6:7], v[84:85]
	v_add_f64 v[115:116], v[72:73], v[76:77]
	v_add_f64 v[119:120], v[72:73], -v[76:77]
	v_fma_f64 v[78:79], v[80:81], s[4:5], v[84:85]
	v_fma_f64 v[84:85], v[111:112], -0.5, v[6:7]
	v_add_f64 v[86:87], v[60:61], -v[16:17]
	v_mul_f64 v[72:73], v[14:15], -0.5
	v_fma_f64 v[58:59], v[58:59], -0.5, v[26:27]
	v_add_f64 v[80:81], v[52:53], -v[64:65]
	v_add_f64 v[88:89], v[88:89], v[62:63]
	v_add_f64 v[82:83], v[94:95], v[82:83]
	v_fma_f64 v[76:77], v[98:99], s[4:5], v[56:57]
	v_fma_f64 v[94:95], v[92:93], s[4:5], v[90:91]
	v_add_f64 v[98:99], v[2:3], v[20:21]
	v_fma_f64 v[90:91], v[92:93], s[6:7], v[90:91]
	v_fma_f64 v[68:69], v[86:87], s[6:7], v[84:85]
	;; [unrolled: 1-line block ×4, first 2 shown]
	v_mul_f64 v[56:57], v[12:13], s[4:5]
	v_add_f64 v[111:112], v[88:89], v[82:83]
	v_add_f64 v[121:122], v[88:89], -v[82:83]
	v_fma_f64 v[88:89], v[98:99], -0.5, v[0:1]
	v_add_f64 v[98:99], v[50:51], -v[48:49]
	v_fma_f64 v[80:81], v[80:81], s[4:5], v[58:59]
	v_mul_f64 v[58:59], v[68:69], s[4:5]
	v_fma_f64 v[82:83], v[86:87], s[4:5], v[84:85]
	v_mul_f64 v[125:126], v[72:73], -0.5
	v_fma_f64 v[56:57], v[76:77], 0.5, v[56:57]
	v_add_f64 v[129:130], v[90:91], v[92:93]
	v_add_f64 v[131:132], v[90:91], -v[92:93]
	v_fma_f64 v[84:85], v[98:99], s[4:5], v[88:89]
	v_fma_f64 v[88:89], v[98:99], s[6:7], v[88:89]
	v_fma_f64 v[86:87], v[80:81], 0.5, v[58:59]
	v_mul_u32_u24_e32 v93, 0x90, v135
	v_fma_f64 v[90:91], v[82:83], s[4:5], v[125:126]
	v_add_f64 v[123:124], v[94:95], v[56:57]
	v_add_f64 v[127:128], v[94:95], -v[56:57]
	v_mov_b32_e32 v94, 3
	v_mul_u32_u24_e32 v56, 0x90, v133
	v_lshlrev_b32_sdwa v57, v94, v134 dst_sel:DWORD dst_unused:UNUSED_PAD src0_sel:DWORD src1_sel:BYTE_0
	v_add3_u32 v92, 0, v56, v57
	v_add_f64 v[56:57], v[84:85], -v[86:87]
	v_add_f64 v[58:59], v[88:89], -v[90:91]
	v_lshlrev_b32_sdwa v95, v94, v136 dst_sel:DWORD dst_unused:UNUSED_PAD src0_sel:DWORD src1_sel:BYTE_0
	v_add3_u32 v93, 0, v93, v95
	ds_write2_b64 v92, v[96:97], v[113:114] offset1:3
	ds_write2_b64 v92, v[115:116], v[100:101] offset0:6 offset1:9
	ds_write2_b64 v92, v[117:118], v[119:120] offset0:12 offset1:15
	ds_write2_b64 v93, v[111:112], v[123:124] offset1:3
	ds_write2_b64 v93, v[129:130], v[121:122] offset0:6 offset1:9
	ds_write2_b64 v93, v[127:128], v[131:132] offset0:12 offset1:15
	s_and_saveexec_b64 s[10:11], vcc
	s_cbranch_execz .LBB0_23
; %bb.22:
	v_add_f64 v[0:1], v[0:1], v[2:3]
	v_add_f64 v[26:27], v[26:27], v[60:61]
	v_add_f64 v[60:61], v[84:85], v[86:87]
	v_add_f64 v[0:1], v[0:1], v[20:21]
	v_add_f64 v[16:17], v[26:27], v[16:17]
	v_add_f64 v[26:27], v[88:89], v[90:91]
	v_add_f64 v[84:85], v[0:1], v[16:17]
	v_add_f64 v[0:1], v[0:1], -v[16:17]
	v_mul_u32_u24_e32 v16, 0x90, v103
	v_lshlrev_b32_sdwa v17, v94, v104 dst_sel:DWORD dst_unused:UNUSED_PAD src0_sel:DWORD src1_sel:BYTE_0
	v_add3_u32 v16, 0, v16, v17
	ds_write2_b64 v16, v[84:85], v[60:61] offset1:3
	ds_write2_b64 v16, v[26:27], v[0:1] offset0:6 offset1:9
	ds_write2_b64 v16, v[56:57], v[58:59] offset0:12 offset1:15
.LBB0_23:
	s_or_b64 exec, exec, s[10:11]
	v_add_f64 v[0:1], v[46:47], v[28:29]
	v_add_f64 v[16:17], v[8:9], v[46:47]
	v_add_f64 v[26:27], v[42:43], -v[34:35]
	v_add_f64 v[34:35], v[44:45], v[54:55]
	v_mul_f64 v[42:43], v[74:75], s[6:7]
	v_add_f64 v[46:47], v[38:39], v[30:31]
	v_mul_f64 v[44:45], v[70:71], -0.5
	v_add_f64 v[36:37], v[36:37], -v[62:63]
	v_fma_f64 v[0:1], v[0:1], -0.5, v[8:9]
	v_add_f64 v[8:9], v[10:11], v[38:39]
	v_add_f64 v[16:17], v[16:17], v[28:29]
	;; [unrolled: 1-line block ×3, first 2 shown]
	v_fma_f64 v[22:23], v[22:23], 0.5, v[42:43]
	v_fma_f64 v[10:11], v[46:47], -0.5, v[10:11]
	v_add_f64 v[2:3], v[2:3], -v[20:21]
	v_fma_f64 v[18:19], v[18:19], s[6:7], v[44:45]
	v_fma_f64 v[34:35], v[26:27], s[6:7], v[0:1]
	;; [unrolled: 1-line block ×3, first 2 shown]
	v_add_f64 v[26:27], v[50:51], v[48:49]
	v_add_f64 v[30:31], v[8:9], v[30:31]
	;; [unrolled: 1-line block ×3, first 2 shown]
	v_mul_f64 v[32:33], v[80:81], s[6:7]
	v_add_f64 v[45:46], v[16:17], v[28:29]
	v_add_f64 v[54:55], v[16:17], -v[28:29]
	v_add_f64 v[66:67], v[34:35], v[22:23]
	v_add_f64 v[84:85], v[34:35], -v[22:23]
	v_fma_f64 v[26:27], v[26:27], -0.5, v[4:5]
	v_mul_f64 v[34:35], v[82:83], -0.5
	v_mul_f64 v[22:23], v[76:77], s[6:7]
	v_mul_f64 v[28:29], v[78:79], -0.5
	v_fma_f64 v[16:17], v[36:37], s[6:7], v[10:11]
	v_fma_f64 v[20:21], v[36:37], s[4:5], v[10:11]
	v_add_f64 v[24:25], v[8:9], v[24:25]
	v_fma_f64 v[40:41], v[68:69], 0.5, v[32:33]
	v_fma_f64 v[8:9], v[2:3], s[6:7], v[26:27]
	v_fma_f64 v[10:11], v[2:3], s[4:5], v[26:27]
	;; [unrolled: 1-line block ×3, first 2 shown]
	v_fma_f64 v[12:13], v[12:13], 0.5, v[22:23]
	v_fma_f64 v[14:15], v[14:15], s[6:7], v[28:29]
	v_add_f64 v[74:75], v[0:1], v[18:19]
	v_lshl_add_u32 v100, v106, 3, 0
	v_add_f64 v[76:77], v[0:1], -v[18:19]
	v_add_f64 v[60:61], v[8:9], -v[40:41]
	v_add_u32_e32 v44, 0x400, v100
	v_add_f64 v[62:63], v[10:11], -v[42:43]
	v_add_u32_e32 v70, 0x800, v107
	v_add_u32_e32 v71, 0x1000, v107
	;; [unrolled: 1-line block ×3, first 2 shown]
	v_add_f64 v[68:69], v[30:31], v[24:25]
	v_add_f64 v[72:73], v[16:17], v[12:13]
	;; [unrolled: 1-line block ×3, first 2 shown]
	v_add_f64 v[80:81], v[30:31], -v[24:25]
	v_add_f64 v[82:83], v[16:17], -v[12:13]
	;; [unrolled: 1-line block ×3, first 2 shown]
	s_waitcnt lgkmcnt(0)
	; wave barrier
	s_waitcnt lgkmcnt(0)
	ds_read2_b64 v[16:19], v107 offset1:54
	ds_read2_b64 v[12:15], v100 offset0:108 offset1:162
	ds_read2_b64 v[36:39], v44 offset0:88 offset1:142
	;; [unrolled: 1-line block ×7, first 2 shown]
	s_waitcnt lgkmcnt(0)
	; wave barrier
	s_waitcnt lgkmcnt(0)
	ds_write2_b64 v92, v[45:46], v[66:67] offset1:3
	ds_write2_b64 v92, v[74:75], v[54:55] offset0:6 offset1:9
	ds_write2_b64 v92, v[84:85], v[76:77] offset0:12 offset1:15
	ds_write2_b64 v93, v[68:69], v[72:73] offset1:3
	ds_write2_b64 v93, v[78:79], v[80:81] offset0:6 offset1:9
	ds_write2_b64 v93, v[82:83], v[86:87] offset0:12 offset1:15
	s_and_saveexec_b64 s[4:5], vcc
	s_cbranch_execz .LBB0_25
; %bb.24:
	v_add_f64 v[4:5], v[4:5], v[50:51]
	v_add_f64 v[6:7], v[6:7], v[52:53]
	;; [unrolled: 1-line block ×7, first 2 shown]
	v_add_f64 v[4:5], v[4:5], -v[6:7]
	v_mov_b32_e32 v7, 3
	v_mul_u32_u24_e32 v6, 0x90, v103
	v_lshlrev_b32_sdwa v7, v7, v104 dst_sel:DWORD dst_unused:UNUSED_PAD src0_sel:DWORD src1_sel:BYTE_0
	v_add3_u32 v6, 0, v6, v7
	ds_write2_b64 v6, v[40:41], v[8:9] offset1:3
	ds_write2_b64 v6, v[10:11], v[4:5] offset0:6 offset1:9
	ds_write2_b64 v6, v[60:61], v[62:63] offset0:12 offset1:15
.LBB0_25:
	s_or_b64 exec, exec, s[4:5]
	v_mov_b32_e32 v40, 57
	v_mul_lo_u16_sdwa v40, v106, v40 dst_sel:DWORD dst_unused:UNUSED_PAD src0_sel:BYTE_0 src1_sel:DWORD
	v_lshrrev_b16_e32 v40, 10, v40
	v_mul_lo_u16_e32 v41, 18, v40
	v_sub_u16_e32 v41, v106, v41
	v_mov_b32_e32 v42, 15
	v_mul_u32_u24_sdwa v42, v41, v42 dst_sel:DWORD dst_unused:UNUSED_PAD src0_sel:BYTE_0 src1_sel:DWORD
	v_lshlrev_b32_e32 v55, 4, v42
	s_waitcnt lgkmcnt(0)
	; wave barrier
	s_waitcnt lgkmcnt(0)
	ds_read2_b64 v[4:7], v107 offset1:54
	ds_read2_b64 v[45:48], v100 offset0:108 offset1:162
	ds_read2_b64 v[49:52], v44 offset0:88 offset1:142
	;; [unrolled: 1-line block ×7, first 2 shown]
	global_load_dwordx4 v[84:87], v55, s[8:9] offset:288
	global_load_dwordx4 v[88:91], v55, s[8:9] offset:272
	;; [unrolled: 1-line block ×4, first 2 shown]
	s_mov_b32 s10, 0x667f3bcd
	s_mov_b32 s11, 0x3fe6a09e
	;; [unrolled: 1-line block ×10, first 2 shown]
	v_mul_u32_u24_e32 v40, 0x120, v40
	v_or_b32_sdwa v40, v40, v41 dst_sel:DWORD dst_unused:UNUSED_PAD src0_sel:DWORD src1_sel:BYTE_0
	s_waitcnt vmcnt(0) lgkmcnt(7)
	v_mul_f64 v[42:43], v[6:7], v[98:99]
	v_fma_f64 v[53:54], v[18:19], v[96:97], -v[42:43]
	v_mul_f64 v[18:19], v[18:19], v[98:99]
	v_fma_f64 v[18:19], v[6:7], v[96:97], v[18:19]
	s_waitcnt lgkmcnt(6)
	v_mul_f64 v[6:7], v[45:46], v[94:95]
	v_fma_f64 v[68:69], v[12:13], v[92:93], -v[6:7]
	v_mul_f64 v[6:7], v[12:13], v[94:95]
	v_fma_f64 v[92:93], v[45:46], v[92:93], v[6:7]
	v_mul_f64 v[6:7], v[47:48], v[90:91]
	v_fma_f64 v[94:95], v[14:15], v[88:89], -v[6:7]
	v_mul_f64 v[6:7], v[14:15], v[90:91]
	v_fma_f64 v[88:89], v[47:48], v[88:89], v[6:7]
	s_waitcnt lgkmcnt(5)
	v_mul_f64 v[6:7], v[49:50], v[86:87]
	v_fma_f64 v[90:91], v[36:37], v[84:85], -v[6:7]
	v_mul_f64 v[6:7], v[36:37], v[86:87]
	v_fma_f64 v[6:7], v[49:50], v[84:85], v[6:7]
	global_load_dwordx4 v[12:15], v55, s[8:9] offset:352
	global_load_dwordx4 v[42:45], v55, s[8:9] offset:336
	global_load_dwordx4 v[46:49], v55, s[8:9] offset:320
	global_load_dwordx4 v[84:87], v55, s[8:9] offset:304
	s_waitcnt vmcnt(0)
	v_mul_f64 v[36:37], v[51:52], v[86:87]
	v_fma_f64 v[96:97], v[38:39], v[84:85], -v[36:37]
	v_mul_f64 v[36:37], v[38:39], v[86:87]
	v_fma_f64 v[50:51], v[51:52], v[84:85], v[36:37]
	s_waitcnt lgkmcnt(4)
	v_mul_f64 v[36:37], v[64:65], v[48:49]
	v_fma_f64 v[84:85], v[32:33], v[46:47], -v[36:37]
	v_mul_f64 v[32:33], v[32:33], v[48:49]
	v_fma_f64 v[64:65], v[64:65], v[46:47], v[32:33]
	v_mul_f64 v[32:33], v[66:67], v[44:45]
	v_fma_f64 v[86:87], v[34:35], v[42:43], -v[32:33]
	v_mul_f64 v[32:33], v[34:35], v[44:45]
	v_fma_f64 v[66:67], v[66:67], v[42:43], v[32:33]
	s_waitcnt lgkmcnt(3)
	v_mul_f64 v[32:33], v[8:9], v[14:15]
	v_fma_f64 v[98:99], v[0:1], v[12:13], -v[32:33]
	global_load_dwordx4 v[32:35], v55, s[8:9] offset:416
	global_load_dwordx4 v[36:39], v55, s[8:9] offset:400
	;; [unrolled: 1-line block ×4, first 2 shown]
	s_waitcnt vmcnt(0)
	v_mul_f64 v[103:104], v[10:11], v[48:49]
	v_fma_f64 v[103:104], v[2:3], v[46:47], -v[103:104]
	v_mul_f64 v[2:3], v[2:3], v[48:49]
	v_fma_f64 v[46:47], v[10:11], v[46:47], v[2:3]
	s_waitcnt lgkmcnt(2)
	v_mul_f64 v[2:3], v[72:73], v[44:45]
	v_mul_f64 v[10:11], v[28:29], v[44:45]
	v_fma_f64 v[2:3], v[28:29], v[42:43], -v[2:3]
	v_fma_f64 v[42:43], v[72:73], v[42:43], v[10:11]
	v_mul_f64 v[10:11], v[74:75], v[38:39]
	v_fma_f64 v[48:49], v[30:31], v[36:37], -v[10:11]
	v_mul_f64 v[10:11], v[30:31], v[38:39]
	v_fma_f64 v[72:73], v[74:75], v[36:37], v[10:11]
	s_waitcnt lgkmcnt(1)
	v_mul_f64 v[10:11], v[76:77], v[34:35]
	v_add_f64 v[72:73], v[88:89], -v[72:73]
	v_fma_f64 v[10:11], v[24:25], v[32:33], -v[10:11]
	v_mul_f64 v[24:25], v[24:25], v[34:35]
	v_add_f64 v[10:11], v[90:91], -v[10:11]
	v_fma_f64 v[24:25], v[76:77], v[32:33], v[24:25]
	global_load_dwordx4 v[28:31], v55, s[8:9] offset:464
	global_load_dwordx4 v[32:35], v55, s[8:9] offset:448
	;; [unrolled: 1-line block ×3, first 2 shown]
	v_add_f64 v[76:77], v[18:19], -v[46:47]
	s_waitcnt lgkmcnt(0)
	; wave barrier
	s_waitcnt lgkmcnt(0)
	v_fma_f64 v[18:19], v[18:19], 2.0, -v[76:77]
	s_waitcnt vmcnt(0)
	v_mul_f64 v[44:45], v[78:79], v[38:39]
	v_fma_f64 v[74:75], v[26:27], v[36:37], -v[44:45]
	v_mul_f64 v[26:27], v[26:27], v[38:39]
	v_add_f64 v[44:45], v[6:7], -v[24:25]
	v_fma_f64 v[24:25], v[90:91], 2.0, -v[10:11]
	v_fma_f64 v[26:27], v[78:79], v[36:37], v[26:27]
	v_mul_f64 v[36:37], v[80:81], v[34:35]
	v_add_f64 v[78:79], v[94:95], -v[48:49]
	v_add_f64 v[26:27], v[50:51], -v[26:27]
	v_fma_f64 v[36:37], v[20:21], v[32:33], -v[36:37]
	v_mul_f64 v[20:21], v[20:21], v[34:35]
	v_add_f64 v[34:35], v[92:93], -v[42:43]
	v_fma_f64 v[50:51], v[50:51], 2.0, -v[26:27]
	v_add_f64 v[36:37], v[84:85], -v[36:37]
	v_fma_f64 v[20:21], v[80:81], v[32:33], v[20:21]
	v_mul_f64 v[32:33], v[82:83], v[30:31]
	v_fma_f64 v[80:81], v[94:95], 2.0, -v[78:79]
	v_fma_f64 v[42:43], v[84:85], 2.0, -v[36:37]
	v_add_f64 v[20:21], v[64:65], -v[20:21]
	v_fma_f64 v[32:33], v[22:23], v[28:29], -v[32:33]
	v_mul_f64 v[22:23], v[22:23], v[30:31]
	v_add_f64 v[30:31], v[68:69], -v[2:3]
	v_fma_f64 v[2:3], v[92:93], 2.0, -v[34:35]
	v_add_f64 v[36:37], v[34:35], v[36:37]
	v_fma_f64 v[64:65], v[64:65], 2.0, -v[20:21]
	v_add_f64 v[32:33], v[86:87], -v[32:33]
	v_fma_f64 v[22:23], v[82:83], v[28:29], v[22:23]
	v_fma_f64 v[38:39], v[68:69], 2.0, -v[30:31]
	v_add_f64 v[68:69], v[53:54], -v[103:104]
	v_add_f64 v[28:29], v[16:17], -v[98:99]
	v_fma_f64 v[82:83], v[88:89], 2.0, -v[72:73]
	v_add_f64 v[20:21], v[30:31], -v[20:21]
	v_add_f64 v[48:49], v[2:3], -v[64:65]
	;; [unrolled: 1-line block ×4, first 2 shown]
	v_fma_f64 v[84:85], v[86:87], 2.0, -v[32:33]
	v_fma_f64 v[52:53], v[53:54], 2.0, -v[68:69]
	v_add_f64 v[54:55], v[96:97], -v[74:75]
	v_add_f64 v[86:87], v[28:29], -v[44:45]
	v_fma_f64 v[16:17], v[16:17], 2.0, -v[28:29]
	v_add_f64 v[46:47], v[38:39], -v[42:43]
	v_fma_f64 v[50:51], v[18:19], 2.0, -v[64:65]
	v_fma_f64 v[66:67], v[66:67], 2.0, -v[22:23]
	v_add_f64 v[18:19], v[68:69], -v[26:27]
	v_add_f64 v[22:23], v[78:79], -v[22:23]
	v_fma_f64 v[74:75], v[96:97], 2.0, -v[54:55]
	v_add_f64 v[26:27], v[76:77], v[54:55]
	v_fma_f64 v[28:29], v[28:29], 2.0, -v[86:87]
	v_fma_f64 v[30:31], v[30:31], 2.0, -v[20:21]
	v_add_f64 v[84:85], v[80:81], -v[84:85]
	v_add_f64 v[94:95], v[82:83], -v[66:67]
	v_fma_f64 v[90:91], v[68:69], 2.0, -v[18:19]
	v_add_f64 v[32:33], v[72:73], v[32:33]
	v_add_f64 v[42:43], v[52:53], -v[74:75]
	v_fma_f64 v[92:93], v[76:77], 2.0, -v[26:27]
	v_fma_f64 v[76:77], v[78:79], 2.0, -v[22:23]
	;; [unrolled: 1-line block ×3, first 2 shown]
	v_mul_f64 v[54:55], v[30:31], s[10:11]
	v_fma_f64 v[68:69], v[82:83], 2.0, -v[94:95]
	v_fma_f64 v[30:31], v[30:31], s[16:17], v[28:29]
	v_fma_f64 v[72:73], v[72:73], 2.0, -v[32:33]
	v_fma_f64 v[88:89], v[52:53], 2.0, -v[42:43]
	;; [unrolled: 1-line block ×3, first 2 shown]
	v_add_f64 v[24:25], v[16:17], -v[24:25]
	v_mul_f64 v[66:67], v[34:35], s[10:11]
	v_add_f64 v[103:104], v[42:43], -v[94:95]
	v_add_f64 v[80:81], v[50:51], -v[68:69]
	v_fma_f64 v[68:69], v[76:77], s[16:17], v[90:91]
	v_fma_f64 v[30:31], v[34:35], s[16:17], v[30:31]
	;; [unrolled: 1-line block ×3, first 2 shown]
	v_add_f64 v[52:53], v[88:89], -v[52:53]
	v_add_f64 v[34:35], v[24:25], -v[48:49]
	v_add_f64 v[111:112], v[64:65], v[84:85]
	v_fma_f64 v[84:85], v[22:23], s[10:11], v[18:19]
	v_mul_f64 v[74:75], v[20:21], s[10:11]
	v_fma_f64 v[68:69], v[72:73], s[16:17], v[68:69]
	v_fma_f64 v[28:29], v[28:29], 2.0, -v[30:31]
	v_fma_f64 v[76:77], v[76:77], s[10:11], v[82:83]
	v_fma_f64 v[96:97], v[88:89], 2.0, -v[52:53]
	v_fma_f64 v[88:89], v[32:33], s[10:11], v[26:27]
	v_fma_f64 v[20:21], v[20:21], s[10:11], v[86:87]
	v_fma_f64 v[16:17], v[16:17], 2.0, -v[24:25]
	v_fma_f64 v[24:25], v[24:25], 2.0, -v[34:35]
	;; [unrolled: 1-line block ×6, first 2 shown]
	v_fma_f64 v[90:91], v[22:23], s[10:11], v[88:89]
	v_fma_f64 v[20:21], v[36:37], s[16:17], v[20:21]
	v_fma_f64 v[64:65], v[64:65], 2.0, -v[111:112]
	v_mul_f64 v[78:79], v[36:37], s[10:11]
	v_fma_f64 v[22:23], v[72:73], s[4:5], v[28:29]
	v_mul_f64 v[92:93], v[42:43], s[10:11]
	v_mul_f64 v[98:99], v[111:112], s[10:11]
	v_add_f64 v[38:39], v[16:17], -v[38:39]
	v_fma_f64 v[88:89], v[26:27], 2.0, -v[90:91]
	v_fma_f64 v[36:37], v[86:87], 2.0, -v[20:21]
	v_fma_f64 v[86:87], v[32:33], s[16:17], v[84:85]
	v_mul_f64 v[94:95], v[64:65], s[10:11]
	v_fma_f64 v[22:23], v[82:83], s[6:7], v[22:23]
	v_fma_f64 v[16:17], v[16:17], 2.0, -v[38:39]
	v_fma_f64 v[84:85], v[18:19], 2.0, -v[86:87]
	;; [unrolled: 1-line block ×3, first 2 shown]
	v_fma_f64 v[28:29], v[42:43], s[16:17], v[24:25]
	v_add_f64 v[42:43], v[38:39], -v[80:81]
	v_add_f64 v[18:19], v[16:17], -v[96:97]
	v_mul_f64 v[96:97], v[103:104], s[10:11]
	v_fma_f64 v[32:33], v[84:85], s[6:7], v[36:37]
	v_fma_f64 v[28:29], v[64:65], s[16:17], v[28:29]
	v_fma_f64 v[64:65], v[68:69], s[14:15], v[30:31]
	v_fma_f64 v[16:17], v[16:17], 2.0, -v[18:19]
	v_fma_f64 v[38:39], v[38:39], 2.0, -v[42:43]
	v_fma_f64 v[32:33], v[88:89], s[4:5], v[32:33]
	v_fma_f64 v[24:25], v[24:25], 2.0, -v[28:29]
	v_fma_f64 v[113:114], v[76:77], s[4:5], v[64:65]
	v_fma_f64 v[64:65], v[103:104], s[10:11], v[34:35]
	s_mov_b32 s11, 0x3fed906b
	s_mov_b32 s10, s4
	v_fma_f64 v[36:37], v[36:37], 2.0, -v[32:33]
	v_lshl_add_u32 v103, v40, 3, 0
	v_fma_f64 v[30:31], v[30:31], 2.0, -v[113:114]
	v_fma_f64 v[104:105], v[111:112], s[16:17], v[64:65]
	v_fma_f64 v[64:65], v[86:87], s[10:11], v[20:21]
	v_fma_f64 v[34:35], v[34:35], 2.0, -v[104:105]
	v_fma_f64 v[64:65], v[90:91], s[6:7], v[64:65]
	v_fma_f64 v[20:21], v[20:21], 2.0, -v[64:65]
	ds_write2_b64 v103, v[16:17], v[26:27] offset1:18
	ds_write2_b64 v103, v[24:25], v[36:37] offset0:36 offset1:54
	ds_write2_b64 v103, v[38:39], v[30:31] offset0:72 offset1:90
	;; [unrolled: 1-line block ×6, first 2 shown]
	v_add_u32_e32 v16, 0x400, v103
	ds_write2_b64 v16, v[104:105], v[64:65] offset0:124 offset1:142
	v_add_u32_e32 v104, 0xc00, v107
	s_waitcnt lgkmcnt(0)
	; wave barrier
	s_waitcnt lgkmcnt(0)
	ds_read2_b64 v[16:19], v107 offset1:54
	ds_read2_b64 v[20:23], v70 offset0:32 offset1:86
	ds_read2_b64 v[24:27], v104 offset0:120 offset1:192
	;; [unrolled: 1-line block ×6, first 2 shown]
	ds_read_b64 v[70:71], v100 offset:1728
	s_and_saveexec_b64 s[16:17], s[2:3]
	s_cbranch_execz .LBB0_27
; %bb.26:
	ds_read_b64 v[56:57], v107 offset:4464
	ds_read_b64 v[64:65], v100 offset:2160
	ds_read_b64 v[58:59], v107 offset:6768
.LBB0_27:
	s_or_b64 exec, exec, s[16:17]
	v_mul_f64 v[0:1], v[0:1], v[14:15]
	v_fma_f64 v[6:7], v[6:7], 2.0, -v[44:45]
	v_fma_f64 v[2:3], v[2:3], 2.0, -v[48:49]
	;; [unrolled: 1-line block ×3, first 2 shown]
	s_waitcnt lgkmcnt(0)
	; wave barrier
	s_waitcnt lgkmcnt(0)
	v_add_u32_e32 v80, 0x1000, v107
	v_add_u32_e32 v81, 0x1400, v107
	v_fma_f64 v[0:1], v[8:9], v[12:13], v[0:1]
	v_add_f64 v[0:1], v[4:5], -v[0:1]
	v_add_f64 v[8:9], v[0:1], v[10:11]
	v_fma_f64 v[4:5], v[4:5], 2.0, -v[0:1]
	v_fma_f64 v[0:1], v[0:1], 2.0, -v[8:9]
	v_add_f64 v[6:7], v[4:5], -v[6:7]
	v_add_f64 v[10:11], v[8:9], v[78:79]
	v_add_u32_e32 v78, 0x400, v103
	v_add_u32_e32 v79, 0x800, v107
	v_add_f64 v[12:13], v[0:1], -v[66:67]
	v_add_f64 v[44:45], v[6:7], v[46:47]
	v_add_f64 v[10:11], v[74:75], v[10:11]
	v_fma_f64 v[4:5], v[4:5], 2.0, -v[6:7]
	v_add_f64 v[12:13], v[54:55], v[12:13]
	v_fma_f64 v[6:7], v[6:7], 2.0, -v[44:45]
	v_fma_f64 v[8:9], v[8:9], 2.0, -v[10:11]
	v_add_f64 v[2:3], v[4:5], -v[2:3]
	v_add_f64 v[46:47], v[44:45], v[98:99]
	v_fma_f64 v[48:49], v[90:91], s[10:11], v[10:11]
	v_fma_f64 v[0:1], v[0:1], 2.0, -v[12:13]
	v_add_f64 v[50:51], v[6:7], -v[94:95]
	v_fma_f64 v[54:55], v[88:89], s[6:7], v[8:9]
	v_fma_f64 v[74:75], v[76:77], s[14:15], v[12:13]
	v_fma_f64 v[4:5], v[4:5], 2.0, -v[2:3]
	v_add_f64 v[46:47], v[96:97], v[46:47]
	v_fma_f64 v[66:67], v[86:87], s[14:15], v[48:49]
	v_add_f64 v[48:49], v[2:3], v[52:53]
	v_fma_f64 v[76:77], v[82:83], s[4:5], v[0:1]
	v_add_f64 v[50:51], v[92:93], v[50:51]
	v_fma_f64 v[52:53], v[84:85], s[10:11], v[54:55]
	v_fma_f64 v[54:55], v[68:69], s[10:11], v[74:75]
	v_add_f64 v[14:15], v[4:5], -v[14:15]
	v_fma_f64 v[44:45], v[44:45], 2.0, -v[46:47]
	v_fma_f64 v[10:11], v[10:11], 2.0, -v[66:67]
	;; [unrolled: 1-line block ×3, first 2 shown]
	v_fma_f64 v[68:69], v[72:73], s[14:15], v[76:77]
	v_fma_f64 v[6:7], v[6:7], 2.0, -v[50:51]
	v_fma_f64 v[8:9], v[8:9], 2.0, -v[52:53]
	;; [unrolled: 1-line block ×5, first 2 shown]
	ds_write2_b64 v78, v[46:47], v[66:67] offset0:124 offset1:142
	ds_write2_b64 v103, v[44:45], v[10:11] offset0:108 offset1:126
	;; [unrolled: 1-line block ×7, first 2 shown]
	ds_write2_b64 v103, v[4:5], v[0:1] offset1:18
	s_waitcnt lgkmcnt(0)
	; wave barrier
	s_waitcnt lgkmcnt(0)
	ds_read2_b64 v[0:3], v107 offset1:54
	ds_read2_b64 v[4:7], v79 offset0:32 offset1:86
	ds_read2_b64 v[8:11], v104 offset0:120 offset1:192
	;; [unrolled: 1-line block ×6, first 2 shown]
	ds_read_b64 v[72:73], v100 offset:1728
	s_and_saveexec_b64 s[4:5], s[2:3]
	s_cbranch_execz .LBB0_29
; %bb.28:
	ds_read_b64 v[60:61], v107 offset:4464
	ds_read_b64 v[66:67], v100 offset:2160
	;; [unrolled: 1-line block ×3, first 2 shown]
.LBB0_29:
	s_or_b64 exec, exec, s[4:5]
	s_and_saveexec_b64 s[4:5], s[0:1]
	s_cbranch_execz .LBB0_32
; %bb.30:
	v_add_u32_e32 v74, 0xd8, v106
	v_lshlrev_b32_e32 v68, 1, v74
	v_mov_b32_e32 v69, 0
	v_lshlrev_b64 v[75:76], 4, v[68:69]
	v_mov_b32_e32 v107, s9
	v_add_co_u32_e32 v68, vcc, s8, v75
	v_addc_co_u32_e32 v75, vcc, v107, v76, vcc
	v_add_co_u32_e32 v83, vcc, 0x11d0, v68
	v_addc_co_u32_e32 v84, vcc, 0, v75, vcc
	;; [unrolled: 2-line block ×3, first 2 shown]
	global_load_dwordx4 v[75:78], v[85:86], off offset:464
	global_load_dwordx4 v[79:82], v[83:84], off offset:16
	v_lshlrev_b32_e32 v103, 1, v106
	v_add_u32_e32 v68, 0x144, v103
	v_lshlrev_b64 v[83:84], 4, v[68:69]
	s_movk_i32 s6, 0x1000
	v_add_co_u32_e32 v68, vcc, s8, v83
	v_addc_co_u32_e32 v88, vcc, v107, v84, vcc
	v_add_co_u32_e32 v83, vcc, s6, v68
	s_movk_i32 s0, 0x11d0
	v_addc_co_u32_e32 v84, vcc, 0, v88, vcc
	v_add_co_u32_e32 v87, vcc, s0, v68
	v_addc_co_u32_e32 v88, vcc, 0, v88, vcc
	global_load_dwordx4 v[83:86], v[83:84], off offset:464
	v_lshlrev_b32_e32 v68, 1, v102
	global_load_dwordx4 v[87:90], v[87:88], off offset:16
	v_lshlrev_b64 v[91:92], 4, v[68:69]
	s_mov_b32 s5, 0xbfebb67a
	v_add_co_u32_e32 v68, vcc, s8, v91
	v_addc_co_u32_e32 v91, vcc, v107, v92, vcc
	v_add_co_u32_e32 v99, vcc, s0, v68
	v_addc_co_u32_e32 v100, vcc, 0, v91, vcc
	v_add_co_u32_e32 v101, vcc, s6, v68
	v_addc_co_u32_e32 v102, vcc, 0, v91, vcc
	global_load_dwordx4 v[91:94], v[101:102], off offset:464
	global_load_dwordx4 v[95:98], v[99:100], off offset:16
	v_lshlrev_b32_e32 v68, 1, v110
	v_lshlrev_b64 v[99:100], 4, v[68:69]
	s_movk_i32 s7, 0x2000
	v_add_co_u32_e32 v68, vcc, s8, v99
	v_addc_co_u32_e32 v99, vcc, v107, v100, vcc
	v_add_co_u32_e32 v104, vcc, s0, v68
	v_addc_co_u32_e32 v105, vcc, 0, v99, vcc
	;; [unrolled: 2-line block ×3, first 2 shown]
	global_load_dwordx4 v[99:102], v[114:115], off offset:464
	global_load_dwordx4 v[110:113], v[104:105], off offset:16
	v_mov_b32_e32 v104, v69
	v_lshlrev_b64 v[103:104], 4, v[103:104]
	v_add_co_u32_e32 v68, vcc, s8, v103
	v_addc_co_u32_e32 v105, vcc, v107, v104, vcc
	v_add_co_u32_e32 v103, vcc, s0, v68
	v_addc_co_u32_e32 v104, vcc, 0, v105, vcc
	;; [unrolled: 2-line block ×3, first 2 shown]
	global_load_dwordx4 v[114:117], v[122:123], off offset:464
	global_load_dwordx4 v[118:121], v[103:104], off offset:16
	s_mov_b32 s0, 0xe8584caa
	s_mov_b32 s1, 0x3febb67a
	;; [unrolled: 1-line block ×3, first 2 shown]
	v_mov_b32_e32 v107, v69
	s_waitcnt vmcnt(9)
	v_mul_f64 v[103:104], v[24:25], v[77:78]
	s_waitcnt vmcnt(8)
	v_mul_f64 v[122:123], v[42:43], v[81:82]
	s_waitcnt lgkmcnt(5)
	v_mul_f64 v[77:78], v[8:9], v[77:78]
	s_waitcnt lgkmcnt(1)
	v_mul_f64 v[81:82], v[54:55], v[81:82]
	v_fma_f64 v[8:9], v[8:9], v[75:76], v[103:104]
	v_fma_f64 v[54:55], v[54:55], v[79:80], v[122:123]
	v_fma_f64 v[24:25], v[24:25], v[75:76], -v[77:78]
	v_fma_f64 v[42:43], v[42:43], v[79:80], -v[81:82]
	s_waitcnt lgkmcnt(0)
	v_add_f64 v[103:104], v[72:73], v[8:9]
	v_add_f64 v[77:78], v[8:9], v[54:55]
	v_add_f64 v[8:9], v[8:9], -v[54:55]
	s_waitcnt vmcnt(7)
	v_mul_f64 v[75:76], v[50:51], v[85:86]
	v_add_f64 v[81:82], v[24:25], v[42:43]
	s_waitcnt vmcnt(6)
	v_mul_f64 v[79:80], v[52:53], v[89:90]
	v_mul_f64 v[85:86], v[38:39], v[85:86]
	;; [unrolled: 1-line block ×3, first 2 shown]
	v_fma_f64 v[72:73], v[77:78], -0.5, v[72:73]
	v_fma_f64 v[75:76], v[38:39], v[83:84], -v[75:76]
	v_fma_f64 v[77:78], v[81:82], -0.5, v[70:71]
	v_add_f64 v[38:39], v[24:25], -v[42:43]
	v_fma_f64 v[81:82], v[50:51], v[83:84], v[85:86]
	v_fma_f64 v[83:84], v[52:53], v[87:88], v[89:90]
	v_fma_f64 v[79:80], v[40:41], v[87:88], -v[79:80]
	v_add_f64 v[24:25], v[70:71], v[24:25]
	v_add_f64 v[40:41], v[103:104], v[54:55]
	s_waitcnt vmcnt(5)
	v_mul_f64 v[54:55], v[36:37], v[93:94]
	v_fma_f64 v[50:51], v[8:9], s[4:5], v[77:78]
	v_fma_f64 v[70:71], v[8:9], s[0:1], v[77:78]
	s_waitcnt vmcnt(4)
	v_mul_f64 v[77:78], v[34:35], v[97:98]
	v_add_f64 v[8:9], v[81:82], v[83:84]
	v_fma_f64 v[52:53], v[38:39], s[0:1], v[72:73]
	v_fma_f64 v[72:73], v[38:39], s[4:5], v[72:73]
	v_add_f64 v[38:39], v[24:25], v[42:43]
	v_add_f64 v[24:25], v[75:76], v[79:80]
	v_add_f64 v[42:43], v[75:76], -v[79:80]
	v_mul_f64 v[85:86], v[48:49], v[93:94]
	v_mul_f64 v[87:88], v[14:15], v[97:98]
	v_fma_f64 v[8:9], v[8:9], -0.5, v[46:47]
	v_fma_f64 v[54:55], v[48:49], v[91:92], v[54:55]
	v_fma_f64 v[14:15], v[14:15], v[95:96], v[77:78]
	v_add_f64 v[46:47], v[46:47], v[81:82]
	v_fma_f64 v[24:25], v[24:25], -0.5, v[30:31]
	v_add_f64 v[81:82], v[81:82], -v[83:84]
	v_fma_f64 v[85:86], v[36:37], v[91:92], -v[85:86]
	v_fma_f64 v[87:88], v[34:35], v[95:96], -v[87:88]
	v_fma_f64 v[36:37], v[42:43], s[0:1], v[8:9]
	v_fma_f64 v[48:49], v[42:43], s[4:5], v[8:9]
	v_add_f64 v[8:9], v[54:55], v[14:15]
	v_add_f64 v[30:31], v[30:31], v[75:76]
	;; [unrolled: 1-line block ×3, first 2 shown]
	v_fma_f64 v[34:35], v[81:82], s[4:5], v[24:25]
	v_fma_f64 v[46:47], v[81:82], s[0:1], v[24:25]
	v_add_f64 v[24:25], v[85:86], -v[87:88]
	s_waitcnt vmcnt(3)
	v_mul_f64 v[42:43], v[22:23], v[101:102]
	s_waitcnt vmcnt(2)
	v_mul_f64 v[81:82], v[32:33], v[112:113]
	v_fma_f64 v[83:84], v[8:9], -0.5, v[44:45]
	v_add_f64 v[75:76], v[30:31], v[79:80]
	v_add_f64 v[30:31], v[44:45], v[54:55]
	;; [unrolled: 1-line block ×3, first 2 shown]
	v_mul_f64 v[79:80], v[6:7], v[101:102]
	v_mul_f64 v[89:90], v[12:13], v[112:113]
	v_fma_f64 v[42:43], v[6:7], v[99:100], v[42:43]
	v_fma_f64 v[81:82], v[12:13], v[110:111], v[81:82]
	;; [unrolled: 1-line block ×4, first 2 shown]
	v_add_f64 v[24:25], v[30:31], v[14:15]
	v_fma_f64 v[30:31], v[44:45], -0.5, v[28:29]
	v_add_f64 v[14:15], v[54:55], -v[14:15]
	v_fma_f64 v[44:45], v[22:23], v[99:100], -v[79:80]
	v_fma_f64 v[54:55], v[32:33], v[110:111], -v[89:90]
	s_waitcnt vmcnt(1)
	v_mul_f64 v[32:33], v[20:21], v[116:117]
	s_waitcnt vmcnt(0)
	v_mul_f64 v[79:80], v[26:27], v[120:121]
	v_mul_f64 v[83:84], v[4:5], v[116:117]
	;; [unrolled: 1-line block ×3, first 2 shown]
	v_add_f64 v[22:23], v[42:43], v[81:82]
	v_fma_f64 v[6:7], v[14:15], s[4:5], v[30:31]
	v_add_f64 v[28:29], v[28:29], v[85:86]
	v_add_f64 v[85:86], v[44:45], -v[54:55]
	v_fma_f64 v[4:5], v[4:5], v[114:115], v[32:33]
	v_fma_f64 v[79:80], v[10:11], v[118:119], v[79:80]
	v_fma_f64 v[83:84], v[20:21], v[114:115], -v[83:84]
	v_fma_f64 v[89:90], v[26:27], v[118:119], -v[89:90]
	v_fma_f64 v[91:92], v[22:23], -0.5, v[2:3]
	v_fma_f64 v[10:11], v[14:15], s[0:1], v[30:31]
	v_add_f64 v[2:3], v[2:3], v[42:43]
	v_add_f64 v[26:27], v[44:45], v[54:55]
	;; [unrolled: 1-line block ×4, first 2 shown]
	v_add_f64 v[42:43], v[42:43], -v[81:82]
	v_add_f64 v[30:31], v[83:84], v[89:90]
	v_fma_f64 v[20:21], v[85:86], s[0:1], v[91:92]
	v_fma_f64 v[28:29], v[85:86], s[4:5], v[91:92]
	v_add_f64 v[32:33], v[2:3], v[81:82]
	v_add_f64 v[2:3], v[18:19], v[44:45]
	v_add_f64 v[44:45], v[83:84], -v[89:90]
	v_fma_f64 v[14:15], v[14:15], -0.5, v[0:1]
	v_add_f64 v[0:1], v[0:1], v[4:5]
	v_add_f64 v[83:84], v[16:17], v[83:84]
	v_fma_f64 v[26:27], v[26:27], -0.5, v[18:19]
	v_fma_f64 v[81:82], v[30:31], -0.5, v[16:17]
	v_add_f64 v[85:86], v[4:5], -v[79:80]
	v_add_f64 v[30:31], v[2:3], v[54:55]
	v_add_co_u32_e32 v54, vcc, s12, v108
	v_add_f64 v[4:5], v[0:1], v[79:80]
	v_add_f64 v[2:3], v[83:84], v[89:90]
	v_mov_b32_e32 v0, s13
	v_fma_f64 v[18:19], v[42:43], s[4:5], v[26:27]
	v_fma_f64 v[26:27], v[42:43], s[0:1], v[26:27]
	;; [unrolled: 1-line block ×6, first 2 shown]
	v_addc_co_u32_e32 v55, vcc, v0, v109, vcc
	v_lshlrev_b64 v[0:1], 4, v[106:107]
	v_add_co_u32_e32 v0, vcc, v54, v0
	v_addc_co_u32_e32 v1, vcc, v55, v1, vcc
	global_store_dwordx4 v[0:1], v[2:5], off
	s_nop 0
	v_add_co_u32_e32 v2, vcc, s6, v0
	v_addc_co_u32_e32 v3, vcc, 0, v1, vcc
	v_add_co_u32_e32 v4, vcc, s7, v0
	v_addc_co_u32_e32 v5, vcc, 0, v1, vcc
	s_mov_b32 s7, 0x38e38e39
	global_store_dwordx4 v[2:3], v[42:45], off offset:512
	global_store_dwordx4 v[4:5], v[14:17], off offset:1024
	;; [unrolled: 1-line block ×11, first 2 shown]
	v_mul_hi_u32 v6, v74, s7
	v_lshrrev_b32_e32 v4, 6, v6
	v_mul_u32_u24_e32 v68, 0x240, v4
	v_lshlrev_b64 v[4:5], 4, v[68:69]
	v_add_co_u32_e32 v4, vcc, v0, v4
	v_addc_co_u32_e32 v5, vcc, v1, v5, vcc
	v_add_co_u32_e32 v6, vcc, 0x1000, v4
	v_addc_co_u32_e32 v7, vcc, 0, v5, vcc
	global_store_dwordx4 v[4:5], v[38:41], off offset:3456
	v_add_co_u32_e32 v4, vcc, 0x3000, v4
	v_addc_co_u32_e32 v5, vcc, 0, v5, vcc
	global_store_dwordx4 v[6:7], v[70:73], off offset:3968
	global_store_dwordx4 v[4:5], v[50:53], off offset:384
	s_and_b64 exec, exec, s[2:3]
	s_cbranch_execz .LBB0_32
; %bb.31:
	v_not_b32_e32 v4, 17
	v_mov_b32_e32 v5, 0x10e
	v_cndmask_b32_e64 v4, v4, v5, s[2:3]
	v_add_lshl_u32 v68, v106, v4, 1
	v_lshlrev_b64 v[4:5], 4, v[68:69]
	v_mov_b32_e32 v6, s9
	v_add_co_u32_e32 v4, vcc, s8, v4
	v_addc_co_u32_e32 v5, vcc, v6, v5, vcc
	v_add_co_u32_e32 v12, vcc, 0x11d0, v4
	v_addc_co_u32_e32 v13, vcc, 0, v5, vcc
	;; [unrolled: 2-line block ×3, first 2 shown]
	global_load_dwordx4 v[4:7], v[14:15], off offset:464
	global_load_dwordx4 v[8:11], v[12:13], off offset:16
	v_add_co_u32_e32 v16, vcc, 0x2000, v0
	v_addc_co_u32_e32 v17, vcc, 0, v1, vcc
	v_add_co_u32_e32 v0, vcc, 0x3000, v0
	v_addc_co_u32_e32 v1, vcc, 0, v1, vcc
	s_waitcnt vmcnt(1)
	v_mul_f64 v[12:13], v[60:61], v[6:7]
	s_waitcnt vmcnt(0)
	v_mul_f64 v[14:15], v[62:63], v[10:11]
	v_mul_f64 v[6:7], v[56:57], v[6:7]
	v_mul_f64 v[10:11], v[58:59], v[10:11]
	v_fma_f64 v[12:13], v[56:57], v[4:5], -v[12:13]
	v_fma_f64 v[14:15], v[58:59], v[8:9], -v[14:15]
	v_fma_f64 v[4:5], v[60:61], v[4:5], v[6:7]
	v_fma_f64 v[6:7], v[62:63], v[8:9], v[10:11]
	v_add_f64 v[18:19], v[64:65], v[12:13]
	v_add_f64 v[8:9], v[12:13], v[14:15]
	;; [unrolled: 1-line block ×4, first 2 shown]
	v_add_f64 v[20:21], v[4:5], -v[6:7]
	v_add_f64 v[26:27], v[12:13], -v[14:15]
	v_add_f64 v[4:5], v[18:19], v[14:15]
	v_fma_f64 v[24:25], v[8:9], -0.5, v[64:65]
	v_add_f64 v[6:7], v[22:23], v[6:7]
	v_fma_f64 v[28:29], v[10:11], -0.5, v[66:67]
	v_fma_f64 v[8:9], v[20:21], s[0:1], v[24:25]
	v_fma_f64 v[12:13], v[20:21], s[4:5], v[24:25]
	;; [unrolled: 1-line block ×4, first 2 shown]
	global_store_dwordx4 v[2:3], v[4:7], off offset:224
	global_store_dwordx4 v[16:17], v[8:11], off offset:736
	;; [unrolled: 1-line block ×3, first 2 shown]
.LBB0_32:
	s_endpgm
	.section	.rodata,"a",@progbits
	.p2align	6, 0x0
	.amdhsa_kernel fft_rtc_fwd_len864_factors_3_6_16_3_wgs_54_tpt_54_halfLds_dp_ip_CI_unitstride_sbrr_dirReg
		.amdhsa_group_segment_fixed_size 0
		.amdhsa_private_segment_fixed_size 0
		.amdhsa_kernarg_size 88
		.amdhsa_user_sgpr_count 6
		.amdhsa_user_sgpr_private_segment_buffer 1
		.amdhsa_user_sgpr_dispatch_ptr 0
		.amdhsa_user_sgpr_queue_ptr 0
		.amdhsa_user_sgpr_kernarg_segment_ptr 1
		.amdhsa_user_sgpr_dispatch_id 0
		.amdhsa_user_sgpr_flat_scratch_init 0
		.amdhsa_user_sgpr_private_segment_size 0
		.amdhsa_uses_dynamic_stack 0
		.amdhsa_system_sgpr_private_segment_wavefront_offset 0
		.amdhsa_system_sgpr_workgroup_id_x 1
		.amdhsa_system_sgpr_workgroup_id_y 0
		.amdhsa_system_sgpr_workgroup_id_z 0
		.amdhsa_system_sgpr_workgroup_info 0
		.amdhsa_system_vgpr_workitem_id 0
		.amdhsa_next_free_vgpr 137
		.amdhsa_next_free_sgpr 22
		.amdhsa_reserve_vcc 1
		.amdhsa_reserve_flat_scratch 0
		.amdhsa_float_round_mode_32 0
		.amdhsa_float_round_mode_16_64 0
		.amdhsa_float_denorm_mode_32 3
		.amdhsa_float_denorm_mode_16_64 3
		.amdhsa_dx10_clamp 1
		.amdhsa_ieee_mode 1
		.amdhsa_fp16_overflow 0
		.amdhsa_exception_fp_ieee_invalid_op 0
		.amdhsa_exception_fp_denorm_src 0
		.amdhsa_exception_fp_ieee_div_zero 0
		.amdhsa_exception_fp_ieee_overflow 0
		.amdhsa_exception_fp_ieee_underflow 0
		.amdhsa_exception_fp_ieee_inexact 0
		.amdhsa_exception_int_div_zero 0
	.end_amdhsa_kernel
	.text
.Lfunc_end0:
	.size	fft_rtc_fwd_len864_factors_3_6_16_3_wgs_54_tpt_54_halfLds_dp_ip_CI_unitstride_sbrr_dirReg, .Lfunc_end0-fft_rtc_fwd_len864_factors_3_6_16_3_wgs_54_tpt_54_halfLds_dp_ip_CI_unitstride_sbrr_dirReg
                                        ; -- End function
	.section	.AMDGPU.csdata,"",@progbits
; Kernel info:
; codeLenInByte = 9464
; NumSgprs: 26
; NumVgprs: 137
; ScratchSize: 0
; MemoryBound: 1
; FloatMode: 240
; IeeeMode: 1
; LDSByteSize: 0 bytes/workgroup (compile time only)
; SGPRBlocks: 3
; VGPRBlocks: 34
; NumSGPRsForWavesPerEU: 26
; NumVGPRsForWavesPerEU: 137
; Occupancy: 1
; WaveLimiterHint : 1
; COMPUTE_PGM_RSRC2:SCRATCH_EN: 0
; COMPUTE_PGM_RSRC2:USER_SGPR: 6
; COMPUTE_PGM_RSRC2:TRAP_HANDLER: 0
; COMPUTE_PGM_RSRC2:TGID_X_EN: 1
; COMPUTE_PGM_RSRC2:TGID_Y_EN: 0
; COMPUTE_PGM_RSRC2:TGID_Z_EN: 0
; COMPUTE_PGM_RSRC2:TIDIG_COMP_CNT: 0
	.type	__hip_cuid_4c32be2cacf87f02,@object ; @__hip_cuid_4c32be2cacf87f02
	.section	.bss,"aw",@nobits
	.globl	__hip_cuid_4c32be2cacf87f02
__hip_cuid_4c32be2cacf87f02:
	.byte	0                               ; 0x0
	.size	__hip_cuid_4c32be2cacf87f02, 1

	.ident	"AMD clang version 19.0.0git (https://github.com/RadeonOpenCompute/llvm-project roc-6.4.0 25133 c7fe45cf4b819c5991fe208aaa96edf142730f1d)"
	.section	".note.GNU-stack","",@progbits
	.addrsig
	.addrsig_sym __hip_cuid_4c32be2cacf87f02
	.amdgpu_metadata
---
amdhsa.kernels:
  - .args:
      - .actual_access:  read_only
        .address_space:  global
        .offset:         0
        .size:           8
        .value_kind:     global_buffer
      - .offset:         8
        .size:           8
        .value_kind:     by_value
      - .actual_access:  read_only
        .address_space:  global
        .offset:         16
        .size:           8
        .value_kind:     global_buffer
      - .actual_access:  read_only
        .address_space:  global
        .offset:         24
        .size:           8
        .value_kind:     global_buffer
      - .offset:         32
        .size:           8
        .value_kind:     by_value
      - .actual_access:  read_only
        .address_space:  global
        .offset:         40
        .size:           8
        .value_kind:     global_buffer
      - .actual_access:  read_only
        .address_space:  global
        .offset:         48
        .size:           8
        .value_kind:     global_buffer
      - .offset:         56
        .size:           4
        .value_kind:     by_value
      - .actual_access:  read_only
        .address_space:  global
        .offset:         64
        .size:           8
        .value_kind:     global_buffer
      - .actual_access:  read_only
        .address_space:  global
        .offset:         72
        .size:           8
        .value_kind:     global_buffer
      - .address_space:  global
        .offset:         80
        .size:           8
        .value_kind:     global_buffer
    .group_segment_fixed_size: 0
    .kernarg_segment_align: 8
    .kernarg_segment_size: 88
    .language:       OpenCL C
    .language_version:
      - 2
      - 0
    .max_flat_workgroup_size: 54
    .name:           fft_rtc_fwd_len864_factors_3_6_16_3_wgs_54_tpt_54_halfLds_dp_ip_CI_unitstride_sbrr_dirReg
    .private_segment_fixed_size: 0
    .sgpr_count:     26
    .sgpr_spill_count: 0
    .symbol:         fft_rtc_fwd_len864_factors_3_6_16_3_wgs_54_tpt_54_halfLds_dp_ip_CI_unitstride_sbrr_dirReg.kd
    .uniform_work_group_size: 1
    .uses_dynamic_stack: false
    .vgpr_count:     137
    .vgpr_spill_count: 0
    .wavefront_size: 64
amdhsa.target:   amdgcn-amd-amdhsa--gfx906
amdhsa.version:
  - 1
  - 2
...

	.end_amdgpu_metadata
